;; amdgpu-corpus repo=ROCm/rocFFT kind=compiled arch=gfx906 opt=O3
	.text
	.amdgcn_target "amdgcn-amd-amdhsa--gfx906"
	.amdhsa_code_object_version 6
	.protected	bluestein_single_fwd_len392_dim1_sp_op_CI_CI ; -- Begin function bluestein_single_fwd_len392_dim1_sp_op_CI_CI
	.globl	bluestein_single_fwd_len392_dim1_sp_op_CI_CI
	.p2align	8
	.type	bluestein_single_fwd_len392_dim1_sp_op_CI_CI,@function
bluestein_single_fwd_len392_dim1_sp_op_CI_CI: ; @bluestein_single_fwd_len392_dim1_sp_op_CI_CI
; %bb.0:
	s_load_dwordx4 s[0:3], s[4:5], 0x28
	v_mul_u32_u24_e32 v1, 0x493, v0
	v_add_u32_sdwa v40, s6, v1 dst_sel:DWORD dst_unused:UNUSED_PAD src0_sel:DWORD src1_sel:WORD_1
	v_mov_b32_e32 v41, 0
	s_waitcnt lgkmcnt(0)
	v_cmp_gt_u64_e32 vcc, s[0:1], v[40:41]
	s_and_saveexec_b64 s[0:1], vcc
	s_cbranch_execz .LBB0_15
; %bb.1:
	s_load_dwordx2 s[8:9], s[4:5], 0x0
	s_load_dwordx2 s[6:7], s[4:5], 0x38
	v_mov_b32_e32 v2, 56
	v_mul_lo_u16_sdwa v1, v1, v2 dst_sel:DWORD dst_unused:UNUSED_PAD src0_sel:WORD_1 src1_sel:DWORD
	v_sub_u16_e32 v41, v0, v1
	v_cmp_gt_u16_e32 vcc, 49, v41
	v_lshlrev_b32_e32 v42, 3, v41
	s_and_saveexec_b64 s[10:11], vcc
	s_cbranch_execz .LBB0_3
; %bb.2:
	s_load_dwordx2 s[0:1], s[4:5], 0x18
	s_waitcnt lgkmcnt(0)
	s_load_dwordx4 s[12:15], s[0:1], 0x0
	s_waitcnt lgkmcnt(0)
	v_mad_u64_u32 v[0:1], s[0:1], s14, v40, 0
	v_mad_u64_u32 v[2:3], s[0:1], s12, v41, 0
	;; [unrolled: 1-line block ×4, first 2 shown]
	v_mov_b32_e32 v1, v4
	v_lshlrev_b64 v[0:1], 3, v[0:1]
	v_mov_b32_e32 v3, v5
	v_mov_b32_e32 v6, s3
	v_lshlrev_b64 v[2:3], 3, v[2:3]
	v_add_co_u32_e64 v0, s[0:1], s2, v0
	v_addc_co_u32_e64 v1, s[0:1], v6, v1, s[0:1]
	v_add_co_u32_e64 v0, s[0:1], v0, v2
	v_addc_co_u32_e64 v1, s[0:1], v1, v3, s[0:1]
	s_mul_i32 s0, s13, 0x188
	s_mul_hi_u32 s1, s12, 0x188
	s_add_i32 s2, s1, s0
	s_mul_i32 s3, s12, 0x188
	v_mov_b32_e32 v3, s2
	v_add_co_u32_e64 v2, s[0:1], s3, v0
	v_addc_co_u32_e64 v3, s[0:1], v1, v3, s[0:1]
	v_mov_b32_e32 v5, s2
	v_add_co_u32_e64 v4, s[0:1], s3, v2
	v_addc_co_u32_e64 v5, s[0:1], v3, v5, s[0:1]
	;; [unrolled: 3-line block ×3, first 2 shown]
	global_load_dwordx2 v[8:9], v[0:1], off
	global_load_dwordx2 v[10:11], v[2:3], off
	;; [unrolled: 1-line block ×4, first 2 shown]
	global_load_dwordx2 v[16:17], v42, s[8:9]
	global_load_dwordx2 v[18:19], v42, s[8:9] offset:392
	global_load_dwordx2 v[20:21], v42, s[8:9] offset:784
	;; [unrolled: 1-line block ×3, first 2 shown]
	v_mov_b32_e32 v1, s2
	v_add_co_u32_e64 v0, s[0:1], s3, v6
	v_addc_co_u32_e64 v1, s[0:1], v7, v1, s[0:1]
	global_load_dwordx2 v[2:3], v[0:1], off
	global_load_dwordx2 v[4:5], v42, s[8:9] offset:1568
	v_mov_b32_e32 v6, s2
	v_add_co_u32_e64 v0, s[0:1], s3, v0
	v_addc_co_u32_e64 v1, s[0:1], v1, v6, s[0:1]
	global_load_dwordx2 v[6:7], v[0:1], off
	v_mov_b32_e32 v24, s2
	v_add_co_u32_e64 v0, s[0:1], s3, v0
	v_addc_co_u32_e64 v1, s[0:1], v1, v24, s[0:1]
	global_load_dwordx2 v[24:25], v42, s[8:9] offset:1960
	global_load_dwordx2 v[26:27], v[0:1], off
	global_load_dwordx2 v[28:29], v42, s[8:9] offset:2352
	v_mov_b32_e32 v30, s2
	v_add_co_u32_e64 v0, s[0:1], s3, v0
	v_addc_co_u32_e64 v1, s[0:1], v1, v30, s[0:1]
	global_load_dwordx2 v[30:31], v42, s[8:9] offset:2744
	global_load_dwordx2 v[32:33], v[0:1], off
	s_waitcnt vmcnt(11)
	v_mul_f32_e32 v0, v9, v17
	v_mul_f32_e32 v1, v8, v17
	v_fmac_f32_e32 v0, v8, v16
	v_fma_f32 v1, v9, v16, -v1
	s_waitcnt vmcnt(10)
	v_mul_f32_e32 v8, v11, v19
	v_mul_f32_e32 v9, v10, v19
	v_fmac_f32_e32 v8, v10, v18
	v_fma_f32 v9, v11, v18, -v9
	s_waitcnt vmcnt(9)
	v_mul_f32_e32 v10, v13, v21
	v_mul_f32_e32 v11, v12, v21
	ds_write2_b64 v42, v[0:1], v[8:9] offset1:49
	s_waitcnt vmcnt(8)
	v_mul_f32_e32 v0, v15, v23
	v_mul_f32_e32 v1, v14, v23
	v_fmac_f32_e32 v10, v12, v20
	v_fma_f32 v11, v13, v20, -v11
	v_fmac_f32_e32 v0, v14, v22
	v_fma_f32 v1, v15, v22, -v1
	s_waitcnt vmcnt(6)
	v_mul_f32_e32 v8, v3, v5
	v_mul_f32_e32 v5, v2, v5
	ds_write2_b64 v42, v[10:11], v[0:1] offset0:98 offset1:147
	s_waitcnt vmcnt(4)
	v_mul_f32_e32 v0, v7, v25
	v_mul_f32_e32 v1, v6, v25
	v_fmac_f32_e32 v8, v2, v4
	v_fma_f32 v9, v3, v4, -v5
	v_fmac_f32_e32 v0, v6, v24
	v_fma_f32 v1, v7, v24, -v1
	s_waitcnt vmcnt(2)
	v_mul_f32_e32 v2, v27, v29
	v_mul_f32_e32 v3, v26, v29
	ds_write2_b64 v42, v[8:9], v[0:1] offset0:196 offset1:245
	s_waitcnt vmcnt(0)
	v_mul_f32_e32 v0, v33, v31
	v_mul_f32_e32 v1, v32, v31
	v_fmac_f32_e32 v2, v26, v28
	v_fma_f32 v3, v27, v28, -v3
	v_fmac_f32_e32 v0, v32, v30
	v_fma_f32 v1, v33, v30, -v1
	v_add_u32_e32 v4, 0x800, v42
	ds_write2_b64 v4, v[2:3], v[0:1] offset0:38 offset1:87
.LBB0_3:
	s_or_b64 exec, exec, s[10:11]
	s_load_dwordx2 s[0:1], s[4:5], 0x20
	s_load_dwordx2 s[10:11], s[4:5], 0x8
	s_waitcnt lgkmcnt(0)
	; wave barrier
	s_waitcnt lgkmcnt(0)
                                        ; implicit-def: $vgpr14
                                        ; implicit-def: $vgpr10
                                        ; implicit-def: $vgpr6
                                        ; implicit-def: $vgpr2
	s_and_saveexec_b64 s[2:3], vcc
	s_cbranch_execz .LBB0_5
; %bb.4:
	ds_read2_b64 v[0:3], v42 offset1:49
	ds_read2_b64 v[4:7], v42 offset0:98 offset1:147
	ds_read2_b64 v[8:11], v42 offset0:196 offset1:245
	v_add_u32_e32 v12, 0x800, v42
	ds_read2_b64 v[12:15], v12 offset0:38 offset1:87
.LBB0_5:
	s_or_b64 exec, exec, s[2:3]
	s_waitcnt lgkmcnt(0)
	v_sub_f32_e32 v8, v0, v8
	v_sub_f32_e32 v16, v1, v9
	;; [unrolled: 1-line block ×9, first 2 shown]
	v_add_f32_e32 v18, v12, v16
	v_sub_f32_e32 v17, v9, v20
	v_add_f32_e32 v19, v21, v11
	v_mov_b32_e32 v14, v10
	v_mov_b32_e32 v15, v18
	v_fmac_f32_e32 v14, 0x3f3504f3, v17
	v_fmac_f32_e32 v15, 0x3f3504f3, v19
	;; [unrolled: 1-line block ×4, first 2 shown]
	v_lshlrev_b16_e32 v43, 3, v41
	s_waitcnt lgkmcnt(0)
	; wave barrier
	s_and_saveexec_b64 s[2:3], vcc
	s_cbranch_execz .LBB0_7
; %bb.6:
	v_fma_f32 v24, v2, 2.0, -v9
	v_fma_f32 v2, v6, 2.0, -v21
	v_sub_f32_e32 v25, v24, v2
	v_fma_f32 v0, v0, 2.0, -v8
	v_fma_f32 v2, v4, 2.0, -v12
	v_sub_f32_e32 v4, v0, v2
	;; [unrolled: 3-line block ×3, first 2 shown]
	v_fma_f32 v2, v16, 2.0, -v18
	v_fma_f32 v6, v11, 2.0, -v19
	v_mov_b32_e32 v3, v2
	v_fma_f32 v1, v1, 2.0, -v16
	v_fma_f32 v5, v5, 2.0, -v13
	v_fmac_f32_e32 v3, 0xbf3504f3, v6
	v_fma_f32 v9, v9, 2.0, -v17
	v_sub_f32_e32 v5, v1, v5
	v_fmac_f32_e32 v3, 0x3f3504f3, v9
	v_fma_f32 v8, v8, 2.0, -v10
	v_add_f32_e32 v13, v25, v5
	v_sub_f32_e32 v12, v4, v27
	v_fma_f32 v7, v2, 2.0, -v3
	v_mov_b32_e32 v2, v8
	v_fma_f32 v21, v5, 2.0, -v13
	v_fma_f32 v20, v4, 2.0, -v12
	v_fmac_f32_e32 v2, 0xbf3504f3, v9
	v_fma_f32 v5, v1, 2.0, -v5
	v_fma_f32 v1, v26, 2.0, -v27
	;; [unrolled: 1-line block ×4, first 2 shown]
	v_fmac_f32_e32 v2, 0xbf3504f3, v6
	v_sub_f32_e32 v1, v5, v1
	v_sub_f32_e32 v0, v4, v0
	v_fma_f32 v6, v8, 2.0, -v2
	v_fma_f32 v5, v5, 2.0, -v1
	;; [unrolled: 1-line block ×3, first 2 shown]
	v_lshlrev_b32_e32 v8, 3, v43
	v_fma_f32 v23, v18, 2.0, -v15
	v_fma_f32 v22, v10, 2.0, -v14
	ds_write_b128 v8, v[4:7]
	ds_write_b128 v8, v[20:23] offset:16
	ds_write_b128 v8, v[0:3] offset:32
	;; [unrolled: 1-line block ×3, first 2 shown]
.LBB0_7:
	s_or_b64 exec, exec, s[2:3]
	v_and_b32_e32 v28, 7, v41
	v_mul_u32_u24_e32 v0, 6, v28
	v_lshlrev_b32_e32 v12, 3, v0
	s_load_dwordx4 s[0:3], s[0:1], 0x0
	s_waitcnt lgkmcnt(0)
	; wave barrier
	s_waitcnt lgkmcnt(0)
	global_load_dwordx4 v[8:11], v12, s[10:11]
	global_load_dwordx4 v[4:7], v12, s[10:11] offset:16
	global_load_dwordx4 v[0:3], v12, s[10:11] offset:32
	v_add_u32_e32 v45, 0x400, v42
	ds_read2_b64 v[16:19], v42 offset1:56
	ds_read2_b64 v[20:23], v42 offset0:112 offset1:168
	ds_read_b64 v[12:13], v42 offset:2688
	ds_read2_b64 v[24:27], v45 offset0:96 offset1:152
	s_mov_b32 s12, 0x3f3bfb3b
	s_mov_b32 s4, 0xbf3bfb3b
	;; [unrolled: 1-line block ×4, first 2 shown]
	s_waitcnt lgkmcnt(0)
	; wave barrier
	s_waitcnt vmcnt(2) lgkmcnt(0)
	v_mul_f32_e32 v29, v19, v9
	v_mul_f32_e32 v30, v18, v9
	;; [unrolled: 1-line block ×4, first 2 shown]
	s_waitcnt vmcnt(1)
	v_mul_f32_e32 v33, v23, v5
	s_waitcnt vmcnt(0)
	v_mul_f32_e32 v37, v27, v1
	v_mul_f32_e32 v38, v26, v1
	;; [unrolled: 1-line block ×7, first 2 shown]
	v_fma_f32 v20, v20, v10, -v31
	v_fmac_f32_e32 v32, v21, v10
	v_fma_f32 v21, v22, v4, -v33
	v_fma_f32 v18, v18, v8, -v29
	v_fmac_f32_e32 v30, v19, v8
	v_fma_f32 v22, v26, v0, -v37
	v_fmac_f32_e32 v38, v27, v0
	;; [unrolled: 2-line block ×3, first 2 shown]
	v_fmac_f32_e32 v34, v23, v4
	v_fma_f32 v19, v24, v6, -v35
	v_fmac_f32_e32 v36, v25, v6
	v_add_f32_e32 v13, v18, v12
	v_add_f32_e32 v23, v30, v44
	;; [unrolled: 1-line block ×4, first 2 shown]
	v_sub_f32_e32 v12, v18, v12
	v_sub_f32_e32 v18, v30, v44
	;; [unrolled: 1-line block ×3, first 2 shown]
	v_add_f32_e32 v26, v21, v19
	v_add_f32_e32 v27, v34, v36
	v_sub_f32_e32 v19, v19, v21
	v_add_f32_e32 v29, v24, v13
	v_add_f32_e32 v30, v25, v23
	v_sub_f32_e32 v22, v32, v38
	v_sub_f32_e32 v31, v24, v13
	;; [unrolled: 1-line block ×7, first 2 shown]
	v_add_f32_e32 v33, v19, v20
	v_add_f32_e32 v26, v26, v29
	;; [unrolled: 1-line block ×3, first 2 shown]
	v_sub_f32_e32 v21, v36, v34
	v_sub_f32_e32 v35, v19, v20
	;; [unrolled: 1-line block ×4, first 2 shown]
	v_add_f32_e32 v29, v33, v12
	v_mul_f32_e32 v30, 0x3f4a47b2, v13
	v_mul_f32_e32 v33, 0x3d64c772, v24
	v_add_f32_e32 v12, v16, v26
	v_add_f32_e32 v13, v17, v27
	;; [unrolled: 1-line block ×3, first 2 shown]
	v_mul_f32_e32 v23, 0x3f4a47b2, v23
	v_mul_f32_e32 v35, 0xbf08b237, v35
	;; [unrolled: 1-line block ×3, first 2 shown]
	v_fma_f32 v16, v31, s12, -v33
	v_fma_f32 v31, v31, s4, -v30
	v_fmac_f32_e32 v30, 0x3d64c772, v24
	v_mov_b32_e32 v24, v12
	v_mov_b32_e32 v33, v13
	v_sub_f32_e32 v36, v21, v22
	v_sub_f32_e32 v21, v18, v21
	;; [unrolled: 1-line block ×3, first 2 shown]
	v_add_f32_e32 v18, v34, v18
	v_mul_f32_e32 v34, 0x3d64c772, v25
	v_fmac_f32_e32 v24, 0xbf955555, v26
	v_fmac_f32_e32 v33, 0xbf955555, v27
	v_fma_f32 v26, v32, s4, -v23
	v_fmac_f32_e32 v23, 0x3d64c772, v25
	v_fma_f32 v25, v20, s5, -v35
	;; [unrolled: 2-line block ×3, first 2 shown]
	v_mul_f32_e32 v36, 0xbf08b237, v36
	v_fmac_f32_e32 v35, 0x3ee1c552, v29
	v_fmac_f32_e32 v25, 0x3ee1c552, v29
	;; [unrolled: 1-line block ×3, first 2 shown]
	v_lshrrev_b32_e32 v29, 3, v41
	v_mul_f32_e32 v38, 0x3f5ff5aa, v22
	v_fma_f32 v22, v22, s5, -v36
	v_fmac_f32_e32 v36, 0x3eae86e6, v21
	v_mul_u32_u24_e32 v29, 56, v29
	v_fma_f32 v17, v32, s12, -v34
	v_fma_f32 v32, v21, s13, -v38
	v_add_f32_e32 v30, v30, v24
	v_add_f32_e32 v34, v23, v33
	v_fmac_f32_e32 v36, 0x3ee1c552, v18
	v_or_b32_e32 v28, v29, v28
	v_add_f32_e32 v23, v16, v24
	v_add_f32_e32 v37, v17, v33
	;; [unrolled: 1-line block ×4, first 2 shown]
	v_fmac_f32_e32 v22, 0x3ee1c552, v18
	v_fmac_f32_e32 v32, 0x3ee1c552, v18
	v_add_f32_e32 v16, v36, v30
	v_sub_f32_e32 v17, v34, v35
	v_lshlrev_b32_e32 v44, 3, v28
	v_add_f32_e32 v18, v32, v24
	v_sub_f32_e32 v19, v26, v27
	v_sub_f32_e32 v20, v23, v22
	v_add_f32_e32 v21, v25, v37
	v_add_f32_e32 v22, v22, v23
	v_sub_f32_e32 v23, v37, v25
	v_sub_f32_e32 v24, v24, v32
	v_add_f32_e32 v25, v27, v26
	ds_write2_b64 v44, v[12:13], v[16:17] offset1:8
	ds_write2_b64 v44, v[18:19], v[20:21] offset0:16 offset1:24
	ds_write2_b64 v44, v[22:23], v[24:25] offset0:32 offset1:40
	v_mad_u64_u32 v[12:13], s[10:11], v41, 48, s[10:11]
	v_sub_f32_e32 v26, v30, v36
	v_add_f32_e32 v27, v35, v34
	ds_write_b64 v44, v[26:27] offset:384
	s_waitcnt lgkmcnt(0)
	; wave barrier
	s_waitcnt lgkmcnt(0)
	global_load_dwordx4 v[24:27], v[12:13], off offset:384
	global_load_dwordx4 v[20:23], v[12:13], off offset:400
	;; [unrolled: 1-line block ×3, first 2 shown]
	ds_read2_b64 v[28:31], v42 offset0:112 offset1:168
	ds_read2_b64 v[32:35], v45 offset0:96 offset1:152
	ds_read_b64 v[12:13], v42 offset:2688
	ds_read2_b64 v[36:39], v42 offset1:56
	s_waitcnt vmcnt(2) lgkmcnt(3)
	v_mul_f32_e32 v46, v29, v27
	v_mul_f32_e32 v47, v28, v27
	s_waitcnt vmcnt(1)
	v_mul_f32_e32 v49, v30, v21
	s_waitcnt lgkmcnt(2)
	v_mul_f32_e32 v50, v33, v23
	s_waitcnt vmcnt(0)
	v_mul_f32_e32 v52, v35, v17
	v_mul_f32_e32 v53, v34, v17
	s_waitcnt lgkmcnt(1)
	v_mul_f32_e32 v54, v13, v19
	v_mul_f32_e32 v55, v12, v19
	s_waitcnt lgkmcnt(0)
	v_mul_f32_e32 v56, v39, v25
	v_mul_f32_e32 v57, v38, v25
	;; [unrolled: 1-line block ×4, first 2 shown]
	v_fma_f32 v46, v28, v26, -v46
	v_fmac_f32_e32 v47, v29, v26
	v_fmac_f32_e32 v49, v31, v20
	v_fma_f32 v31, v32, v22, -v50
	v_fma_f32 v32, v34, v16, -v52
	v_fmac_f32_e32 v53, v35, v16
	v_fma_f32 v12, v12, v18, -v54
	v_fmac_f32_e32 v55, v13, v18
	;; [unrolled: 2-line block ×4, first 2 shown]
	v_add_f32_e32 v33, v13, v12
	v_add_f32_e32 v34, v46, v32
	;; [unrolled: 1-line block ×12, first 2 shown]
	v_sub_f32_e32 v12, v13, v12
	v_sub_f32_e32 v32, v46, v32
	;; [unrolled: 1-line block ×5, first 2 shown]
	v_mov_b32_e32 v46, v28
	v_mov_b32_e32 v47, v29
	v_sub_f32_e32 v13, v57, v55
	v_fmac_f32_e32 v46, 0xbf955555, v50
	v_fmac_f32_e32 v47, 0xbf955555, v52
	v_sub_f32_e32 v49, v34, v33
	v_sub_f32_e32 v50, v38, v34
	;; [unrolled: 1-line block ×4, first 2 shown]
	v_add_f32_e32 v34, v30, v32
	v_sub_f32_e32 v35, v30, v32
	v_sub_f32_e32 v53, v32, v12
	v_add_f32_e32 v32, v31, v36
	v_sub_f32_e32 v37, v31, v36
	v_sub_f32_e32 v54, v36, v13
	v_add_f32_e32 v56, v32, v13
	v_mul_f32_e32 v58, 0xbf08b237, v37
	v_mul_f32_e32 v32, 0x3d64c772, v50
	v_add_f32_e32 v55, v34, v12
	v_fma_f32 v32, v49, s12, -v32
	v_mul_f32_e32 v34, 0x3d64c772, v52
	v_fma_f32 v36, v54, s5, -v58
	v_fma_f32 v34, v51, s12, -v34
	v_add_f32_e32 v32, v32, v46
	v_fmac_f32_e32 v36, 0x3ee1c552, v56
	v_add_f32_e32 v37, v34, v47
	v_sub_f32_e32 v34, v32, v36
	v_add_f32_e32 v36, v36, v32
	v_sub_f32_e32 v32, v33, v38
	v_sub_f32_e32 v13, v13, v31
	v_mul_f32_e32 v31, 0x3f4a47b2, v32
	v_mul_f32_e32 v32, 0x3f5ff5aa, v54
	v_fma_f32 v33, v49, s4, -v31
	v_fma_f32 v38, v13, s13, -v32
	v_add_f32_e32 v33, v33, v46
	v_fmac_f32_e32 v38, 0x3ee1c552, v56
	v_add_f32_e32 v32, v38, v33
	v_sub_f32_e32 v38, v33, v38
	v_sub_f32_e32 v33, v39, v48
	;; [unrolled: 1-line block ×3, first 2 shown]
	v_mul_f32_e32 v49, 0x3f4a47b2, v33
	v_mul_f32_e32 v12, 0x3f5ff5aa, v53
	;; [unrolled: 1-line block ×3, first 2 shown]
	v_fma_f32 v30, v51, s4, -v49
	v_fma_f32 v12, v48, s13, -v12
	;; [unrolled: 1-line block ×3, first 2 shown]
	v_add_f32_e32 v30, v30, v47
	v_fmac_f32_e32 v12, 0x3ee1c552, v55
	v_fmac_f32_e32 v31, 0x3d64c772, v50
	;; [unrolled: 1-line block ×6, first 2 shown]
	v_sub_f32_e32 v33, v30, v12
	v_add_f32_e32 v39, v12, v30
	v_add_f32_e32 v12, v31, v46
	v_fmac_f32_e32 v58, 0x3ee1c552, v56
	v_add_f32_e32 v13, v49, v47
	v_fmac_f32_e32 v57, 0x3ee1c552, v55
	v_add_f32_e32 v35, v59, v37
	v_sub_f32_e32 v37, v37, v59
	v_add_f32_e32 v30, v58, v12
	v_sub_f32_e32 v12, v12, v58
	v_sub_f32_e32 v31, v13, v57
	v_add_f32_e32 v13, v57, v13
	ds_write2_b64 v42, v[28:29], v[30:31] offset1:56
	ds_write2_b64 v42, v[32:33], v[34:35] offset0:112 offset1:168
	ds_write2_b64 v45, v[36:37], v[38:39] offset0:96 offset1:152
	ds_write_b64 v42, v[12:13] offset:2688
	s_waitcnt lgkmcnt(0)
	; wave barrier
	s_waitcnt lgkmcnt(0)
	s_and_saveexec_b64 s[4:5], vcc
	s_cbranch_execz .LBB0_9
; %bb.8:
	global_load_dwordx2 v[49:50], v42, s[8:9] offset:3136
	ds_read2_b64 v[45:48], v42 offset1:49
	s_add_u32 s10, s8, 0xc40
	s_addc_u32 s11, s9, 0
	v_add_u32_e32 v53, 0x800, v42
	s_waitcnt vmcnt(0) lgkmcnt(0)
	v_mul_f32_e32 v51, v46, v50
	v_mul_f32_e32 v52, v45, v50
	v_fma_f32 v51, v45, v49, -v51
	v_fmac_f32_e32 v52, v46, v49
	global_load_dwordx2 v[45:46], v42, s[10:11] offset:392
	s_waitcnt vmcnt(0)
	v_mul_f32_e32 v49, v48, v46
	v_mul_f32_e32 v50, v47, v46
	v_fma_f32 v49, v47, v45, -v49
	v_fmac_f32_e32 v50, v48, v45
	ds_write2_b64 v42, v[51:52], v[49:50] offset1:49
	global_load_dwordx2 v[49:50], v42, s[10:11] offset:784
	ds_read2_b64 v[45:48], v42 offset0:98 offset1:147
	s_waitcnt vmcnt(0) lgkmcnt(0)
	v_mul_f32_e32 v51, v46, v50
	v_mul_f32_e32 v52, v45, v50
	v_fma_f32 v51, v45, v49, -v51
	v_fmac_f32_e32 v52, v46, v49
	global_load_dwordx2 v[45:46], v42, s[10:11] offset:1176
	s_waitcnt vmcnt(0)
	v_mul_f32_e32 v49, v48, v46
	v_mul_f32_e32 v50, v47, v46
	v_fma_f32 v49, v47, v45, -v49
	v_fmac_f32_e32 v50, v48, v45
	ds_write2_b64 v42, v[51:52], v[49:50] offset0:98 offset1:147
	global_load_dwordx2 v[49:50], v42, s[10:11] offset:1568
	ds_read2_b64 v[45:48], v42 offset0:196 offset1:245
	s_waitcnt vmcnt(0) lgkmcnt(0)
	v_mul_f32_e32 v51, v46, v50
	v_mul_f32_e32 v52, v45, v50
	v_fma_f32 v51, v45, v49, -v51
	v_fmac_f32_e32 v52, v46, v49
	global_load_dwordx2 v[45:46], v42, s[10:11] offset:1960
	s_waitcnt vmcnt(0)
	v_mul_f32_e32 v49, v48, v46
	v_mul_f32_e32 v50, v47, v46
	v_fma_f32 v49, v47, v45, -v49
	v_fmac_f32_e32 v50, v48, v45
	ds_write2_b64 v42, v[51:52], v[49:50] offset0:196 offset1:245
	;; [unrolled: 14-line block ×3, first 2 shown]
.LBB0_9:
	s_or_b64 exec, exec, s[4:5]
	s_waitcnt lgkmcnt(0)
	; wave barrier
	s_waitcnt lgkmcnt(0)
	s_and_saveexec_b64 s[4:5], vcc
	s_cbranch_execz .LBB0_11
; %bb.10:
	ds_read2_b64 v[28:31], v42 offset1:49
	ds_read2_b64 v[32:35], v42 offset0:98 offset1:147
	ds_read2_b64 v[36:39], v42 offset0:196 offset1:245
	v_add_u32_e32 v12, 0x800, v42
	ds_read2_b64 v[12:15], v12 offset0:38 offset1:87
.LBB0_11:
	s_or_b64 exec, exec, s[4:5]
	s_waitcnt lgkmcnt(0)
	; wave barrier
	s_waitcnt lgkmcnt(0)
	s_and_saveexec_b64 s[4:5], vcc
	s_cbranch_execz .LBB0_13
; %bb.12:
	v_sub_f32_e32 v45, v29, v37
	v_sub_f32_e32 v12, v32, v12
	;; [unrolled: 1-line block ×9, first 2 shown]
	v_mov_b32_e32 v39, v46
	v_sub_f32_e32 v49, v35, v15
	v_add_f32_e32 v53, v13, v52
	v_fma_f32 v29, v29, 2.0, -v45
	v_fma_f32 v13, v33, 2.0, -v13
	;; [unrolled: 1-line block ×4, first 2 shown]
	v_fmac_f32_e32 v39, 0x3f3504f3, v48
	v_add_f32_e32 v51, v49, v50
	v_sub_f32_e32 v33, v29, v13
	v_fma_f32 v13, v34, 2.0, -v37
	v_fma_f32 v28, v28, 2.0, -v52
	;; [unrolled: 1-line block ×5, first 2 shown]
	v_mov_b32_e32 v31, v30
	v_fmac_f32_e32 v39, 0xbf3504f3, v51
	v_sub_f32_e32 v32, v28, v12
	v_fma_f32 v12, v35, 2.0, -v49
	v_fmac_f32_e32 v31, 0xbf3504f3, v34
	v_fma_f32 v45, v50, 2.0, -v51
	v_fma_f32 v15, v46, 2.0, -v39
	v_sub_f32_e32 v55, v54, v13
	v_sub_f32_e32 v49, v56, v12
	v_fmac_f32_e32 v31, 0xbf3504f3, v45
	v_fma_f32 v46, v52, 2.0, -v53
	v_sub_f32_e32 v37, v33, v55
	v_add_f32_e32 v36, v49, v32
	v_fma_f32 v35, v30, 2.0, -v31
	v_mov_b32_e32 v30, v46
	v_mov_b32_e32 v38, v53
	v_fma_f32 v13, v33, 2.0, -v37
	v_fma_f32 v12, v32, 2.0, -v36
	v_fmac_f32_e32 v30, 0xbf3504f3, v45
	v_fma_f32 v33, v29, 2.0, -v33
	v_fma_f32 v29, v56, 2.0, -v49
	;; [unrolled: 1-line block ×4, first 2 shown]
	v_fmac_f32_e32 v38, 0x3f3504f3, v51
	v_fmac_f32_e32 v30, 0x3f3504f3, v34
	v_sub_f32_e32 v29, v33, v29
	v_sub_f32_e32 v28, v32, v28
	v_fmac_f32_e32 v38, 0x3f3504f3, v48
	v_fma_f32 v34, v46, 2.0, -v30
	v_fma_f32 v33, v33, 2.0, -v29
	;; [unrolled: 1-line block ×3, first 2 shown]
	v_lshlrev_b32_e32 v43, 3, v43
	v_fma_f32 v14, v53, 2.0, -v38
	ds_write_b128 v43, v[32:35]
	ds_write_b128 v43, v[12:15] offset:16
	ds_write_b128 v43, v[28:31] offset:32
	;; [unrolled: 1-line block ×3, first 2 shown]
.LBB0_13:
	s_or_b64 exec, exec, s[4:5]
	s_waitcnt lgkmcnt(0)
	; wave barrier
	s_waitcnt lgkmcnt(0)
	ds_read2_b64 v[28:31], v42 offset1:56
	ds_read2_b64 v[32:35], v42 offset0:112 offset1:168
	v_add_u32_e32 v12, 0x400, v42
	ds_read2_b64 v[36:39], v12 offset0:96 offset1:152
	ds_read_b64 v[13:14], v42 offset:2688
	s_mov_b32 s4, 0xbf5ff5aa
	s_waitcnt lgkmcnt(3)
	v_mul_f32_e32 v15, v9, v31
	v_mul_f32_e32 v9, v9, v30
	v_fmac_f32_e32 v15, v8, v30
	v_fma_f32 v8, v8, v31, -v9
	s_waitcnt lgkmcnt(2)
	v_mul_f32_e32 v9, v11, v33
	v_mul_f32_e32 v11, v11, v32
	v_fmac_f32_e32 v9, v10, v32
	v_fma_f32 v10, v10, v33, -v11
	v_mul_f32_e32 v11, v5, v35
	v_mul_f32_e32 v5, v5, v34
	v_fmac_f32_e32 v11, v4, v34
	v_fma_f32 v4, v4, v35, -v5
	s_waitcnt lgkmcnt(1)
	v_mul_f32_e32 v5, v7, v37
	v_mul_f32_e32 v7, v7, v36
	v_fmac_f32_e32 v5, v6, v36
	v_fma_f32 v6, v6, v37, -v7
	;; [unrolled: 9-line block ×3, first 2 shown]
	v_add_f32_e32 v3, v15, v1
	v_add_f32_e32 v13, v8, v2
	v_sub_f32_e32 v2, v8, v2
	v_add_f32_e32 v8, v9, v7
	v_add_f32_e32 v14, v10, v0
	v_sub_f32_e32 v7, v9, v7
	v_sub_f32_e32 v0, v10, v0
	v_add_f32_e32 v9, v11, v5
	v_add_f32_e32 v10, v4, v6
	v_sub_f32_e32 v4, v6, v4
	v_add_f32_e32 v6, v8, v3
	v_sub_f32_e32 v5, v5, v11
	v_add_f32_e32 v11, v14, v13
	v_add_f32_e32 v6, v9, v6
	v_sub_f32_e32 v1, v15, v1
	v_sub_f32_e32 v15, v8, v3
	;; [unrolled: 1-line block ×4, first 2 shown]
	v_add_f32_e32 v31, v5, v7
	v_add_f32_e32 v32, v4, v0
	v_sub_f32_e32 v34, v4, v0
	v_sub_f32_e32 v35, v0, v2
	v_add_f32_e32 v9, v10, v11
	v_add_f32_e32 v0, v28, v6
	v_sub_f32_e32 v30, v14, v13
	v_sub_f32_e32 v13, v13, v10
	v_sub_f32_e32 v14, v10, v14
	v_sub_f32_e32 v33, v5, v7
	v_sub_f32_e32 v5, v1, v5
	v_sub_f32_e32 v7, v7, v1
	v_add_f32_e32 v10, v31, v1
	v_add_f32_e32 v1, v29, v9
	v_mul_f32_e32 v31, 0x3f08b237, v34
	v_mov_b32_e32 v34, v0
	v_sub_f32_e32 v4, v2, v4
	v_add_f32_e32 v2, v32, v2
	v_mul_f32_e32 v3, 0x3f4a47b2, v3
	v_mul_f32_e32 v11, 0x3f4a47b2, v13
	;; [unrolled: 1-line block ×7, first 2 shown]
	v_fmac_f32_e32 v34, 0xbf955555, v6
	v_mov_b32_e32 v6, v1
	s_mov_b32 s5, 0x3f3bfb3b
	s_mov_b32 s10, 0xbf3bfb3b
	;; [unrolled: 1-line block ×3, first 2 shown]
	v_fmac_f32_e32 v6, 0xbf955555, v9
	v_fma_f32 v9, v15, s5, -v13
	v_fma_f32 v13, v30, s5, -v28
	;; [unrolled: 1-line block ×3, first 2 shown]
	v_fmac_f32_e32 v3, 0x3d64c772, v8
	v_fma_f32 v8, v30, s10, -v11
	v_fmac_f32_e32 v11, 0x3d64c772, v14
	v_fma_f32 v14, v7, s4, -v29
	;; [unrolled: 2-line block ×4, first 2 shown]
	v_fma_f32 v32, v4, s11, -v33
	v_add_f32_e32 v33, v3, v34
	v_add_f32_e32 v35, v11, v6
	;; [unrolled: 1-line block ×6, first 2 shown]
	v_fmac_f32_e32 v29, 0xbee1c552, v10
	v_fmac_f32_e32 v31, 0xbee1c552, v2
	;; [unrolled: 1-line block ×6, first 2 shown]
	v_add_f32_e32 v2, v31, v33
	v_sub_f32_e32 v3, v35, v29
	v_add_f32_e32 v4, v32, v13
	v_sub_f32_e32 v5, v15, v30
	v_sub_f32_e32 v6, v9, v28
	v_add_f32_e32 v7, v14, v11
	v_add_f32_e32 v8, v28, v9
	v_sub_f32_e32 v9, v11, v14
	v_sub_f32_e32 v10, v13, v32
	v_add_f32_e32 v11, v30, v15
	v_sub_f32_e32 v13, v33, v31
	v_add_f32_e32 v14, v29, v35
	s_waitcnt lgkmcnt(0)
	; wave barrier
	ds_write2_b64 v44, v[0:1], v[2:3] offset1:8
	ds_write2_b64 v44, v[4:5], v[6:7] offset0:16 offset1:24
	ds_write2_b64 v44, v[8:9], v[10:11] offset0:32 offset1:40
	ds_write_b64 v44, v[13:14] offset:384
	s_waitcnt lgkmcnt(0)
	; wave barrier
	s_waitcnt lgkmcnt(0)
	ds_read2_b64 v[0:3], v42 offset1:56
	ds_read2_b64 v[4:7], v42 offset0:112 offset1:168
	ds_read2_b64 v[8:11], v12 offset0:96 offset1:152
	ds_read_b64 v[13:14], v42 offset:2688
	s_waitcnt lgkmcnt(3)
	v_mul_f32_e32 v15, v25, v3
	v_fmac_f32_e32 v15, v24, v2
	v_mul_f32_e32 v2, v25, v2
	v_fma_f32 v2, v24, v3, -v2
	s_waitcnt lgkmcnt(2)
	v_mul_f32_e32 v3, v27, v5
	v_fmac_f32_e32 v3, v26, v4
	v_mul_f32_e32 v4, v27, v4
	v_fma_f32 v4, v26, v5, -v4
	v_mul_f32_e32 v5, v21, v7
	v_fmac_f32_e32 v5, v20, v6
	v_mul_f32_e32 v6, v21, v6
	v_fma_f32 v6, v20, v7, -v6
	s_waitcnt lgkmcnt(1)
	v_mul_f32_e32 v7, v23, v9
	v_fmac_f32_e32 v7, v22, v8
	v_mul_f32_e32 v8, v23, v8
	v_fma_f32 v8, v22, v9, -v8
	;; [unrolled: 9-line block ×3, first 2 shown]
	v_add_f32_e32 v14, v15, v11
	v_add_f32_e32 v16, v2, v13
	v_sub_f32_e32 v2, v2, v13
	v_add_f32_e32 v13, v3, v9
	v_sub_f32_e32 v11, v15, v11
	;; [unrolled: 2-line block ×6, first 2 shown]
	v_add_f32_e32 v8, v15, v16
	v_add_f32_e32 v7, v9, v7
	;; [unrolled: 1-line block ×4, first 2 shown]
	v_sub_f32_e32 v17, v13, v14
	v_sub_f32_e32 v18, v15, v16
	;; [unrolled: 1-line block ×6, first 2 shown]
	v_add_f32_e32 v19, v5, v3
	v_add_f32_e32 v20, v6, v4
	v_sub_f32_e32 v21, v5, v3
	v_sub_f32_e32 v22, v6, v4
	v_add_f32_e32 v1, v1, v8
	v_mov_b32_e32 v23, v0
	v_sub_f32_e32 v5, v11, v5
	v_sub_f32_e32 v6, v2, v6
	;; [unrolled: 1-line block ×4, first 2 shown]
	v_add_f32_e32 v9, v19, v11
	v_add_f32_e32 v2, v20, v2
	v_mul_f32_e32 v10, 0x3f4a47b2, v14
	v_mul_f32_e32 v11, 0x3f4a47b2, v16
	;; [unrolled: 1-line block ×6, first 2 shown]
	v_fmac_f32_e32 v23, 0xbf955555, v7
	v_mov_b32_e32 v7, v1
	v_mul_f32_e32 v21, 0xbf5ff5aa, v3
	v_mul_f32_e32 v22, 0xbf5ff5aa, v4
	v_fmac_f32_e32 v7, 0xbf955555, v8
	v_fma_f32 v8, v17, s5, -v14
	v_fma_f32 v14, v18, s5, -v16
	;; [unrolled: 1-line block ×3, first 2 shown]
	v_fmac_f32_e32 v10, 0x3d64c772, v13
	v_fma_f32 v13, v18, s10, -v11
	v_fmac_f32_e32 v11, 0x3d64c772, v15
	v_fma_f32 v15, v3, s4, -v19
	;; [unrolled: 2-line block ×4, first 2 shown]
	v_fma_f32 v21, v6, s11, -v22
	v_add_f32_e32 v22, v10, v23
	v_add_f32_e32 v24, v11, v7
	v_fmac_f32_e32 v19, 0xbee1c552, v9
	v_fmac_f32_e32 v20, 0xbee1c552, v2
	v_add_f32_e32 v8, v8, v23
	v_add_f32_e32 v10, v14, v7
	;; [unrolled: 1-line block ×4, first 2 shown]
	v_fmac_f32_e32 v15, 0xbee1c552, v9
	v_fmac_f32_e32 v17, 0xbee1c552, v2
	;; [unrolled: 1-line block ×4, first 2 shown]
	v_add_f32_e32 v2, v20, v22
	v_sub_f32_e32 v3, v24, v19
	v_add_f32_e32 v4, v21, v11
	v_sub_f32_e32 v5, v13, v18
	v_sub_f32_e32 v6, v8, v17
	v_add_f32_e32 v7, v15, v10
	v_add_f32_e32 v8, v17, v8
	v_sub_f32_e32 v9, v10, v15
	v_sub_f32_e32 v10, v11, v21
	v_add_f32_e32 v11, v18, v13
	v_sub_f32_e32 v13, v22, v20
	v_add_f32_e32 v14, v19, v24
	ds_write2_b64 v42, v[0:1], v[2:3] offset1:56
	ds_write2_b64 v42, v[4:5], v[6:7] offset0:112 offset1:168
	ds_write2_b64 v12, v[8:9], v[10:11] offset0:96 offset1:152
	ds_write_b64 v42, v[13:14] offset:2688
	s_waitcnt lgkmcnt(0)
	; wave barrier
	s_waitcnt lgkmcnt(0)
	s_and_b64 exec, exec, vcc
	s_cbranch_execz .LBB0_15
; %bb.14:
	global_load_dwordx2 v[8:9], v42, s[8:9]
	global_load_dwordx2 v[10:11], v42, s[8:9] offset:392
	global_load_dwordx2 v[13:14], v42, s[8:9] offset:784
	;; [unrolled: 1-line block ×5, first 2 shown]
	ds_read_b64 v[27:28], v42 offset:2744
	ds_read_b64 v[21:22], v42
	ds_read2_b64 v[0:3], v42 offset0:49 offset1:98
	ds_read2_b64 v[4:7], v42 offset0:147 offset1:196
	global_load_dwordx2 v[29:30], v42, s[8:9] offset:2352
	global_load_dwordx2 v[31:32], v42, s[8:9] offset:2744
	v_mad_u64_u32 v[19:20], s[4:5], s2, v40, 0
	v_mad_u64_u32 v[23:24], s[10:11], s0, v41, 0
	v_mov_b32_e32 v36, s7
	s_mul_i32 s2, s1, 0x188
	s_mul_hi_u32 s7, s0, 0x188
	s_add_i32 s7, s7, s2
	s_waitcnt lgkmcnt(2)
	v_mad_u64_u32 v[33:34], s[2:3], s3, v40, v[20:21]
	s_mul_i32 s10, s0, 0x188
	v_mov_b32_e32 v37, s7
	v_mov_b32_e32 v20, v33
	v_lshlrev_b64 v[19:20], 3, v[19:20]
	s_mov_b32 s4, 0xa72f0539
	v_add_co_u32_e32 v19, vcc, s6, v19
	v_addc_co_u32_e32 v20, vcc, v36, v20, vcc
	s_mov_b32 s5, 0x3f64e5e0
	v_mov_b32_e32 v38, s7
	s_waitcnt vmcnt(6) lgkmcnt(1)
	v_mul_f32_e32 v36, v1, v11
	v_mul_f32_e32 v11, v0, v11
	s_waitcnt vmcnt(4) lgkmcnt(0)
	v_mul_f32_e32 v39, v5, v16
	v_mul_f32_e32 v16, v4, v16
	s_waitcnt vmcnt(2)
	v_mad_u64_u32 v[34:35], s[0:1], s1, v41, v[24:25]
	v_mov_b32_e32 v35, s7
	v_fmac_f32_e32 v36, v0, v10
	v_mov_b32_e32 v24, v34
	v_lshlrev_b64 v[23:24], 3, v[23:24]
	v_fmac_f32_e32 v39, v4, v15
	v_add_co_u32_e32 v19, vcc, v19, v23
	v_addc_co_u32_e32 v20, vcc, v20, v24, vcc
	v_add_co_u32_e32 v23, vcc, s10, v19
	v_addc_co_u32_e32 v24, vcc, v20, v37, vcc
	;; [unrolled: 2-line block ×3, first 2 shown]
	v_mul_f32_e32 v35, v22, v9
	v_mul_f32_e32 v9, v21, v9
	;; [unrolled: 1-line block ×4, first 2 shown]
	v_fmac_f32_e32 v35, v21, v8
	v_fma_f32 v8, v8, v22, -v9
	v_fma_f32 v9, v10, v1, -v11
	v_fmac_f32_e32 v37, v2, v13
	v_fma_f32 v13, v13, v3, -v14
	v_cvt_f64_f32_e32 v[0:1], v35
	v_cvt_f64_f32_e32 v[2:3], v8
	v_fma_f32 v21, v15, v5, -v16
	v_cvt_f64_f32_e32 v[4:5], v36
	v_cvt_f64_f32_e32 v[8:9], v9
	;; [unrolled: 1-line block ×4, first 2 shown]
	v_mul_f64 v[0:1], v[0:1], s[4:5]
	v_mul_f64 v[2:3], v[2:3], s[4:5]
	v_cvt_f64_f32_e32 v[15:16], v39
	v_cvt_f64_f32_e32 v[21:22], v21
	v_mul_f64 v[4:5], v[4:5], s[4:5]
	v_mul_f64 v[8:9], v[8:9], s[4:5]
	;; [unrolled: 1-line block ×6, first 2 shown]
	v_cvt_f32_f64_e32 v0, v[0:1]
	v_cvt_f32_f64_e32 v1, v[2:3]
	;; [unrolled: 1-line block ×6, first 2 shown]
	v_mul_f32_e32 v40, v7, v18
	v_mul_f32_e32 v18, v6, v18
	v_fmac_f32_e32 v40, v6, v17
	global_store_dwordx2 v[19:20], v[0:1], off
	global_store_dwordx2 v[23:24], v[2:3], off
	;; [unrolled: 1-line block ×3, first 2 shown]
	v_fma_f32 v0, v17, v7, -v18
	v_cvt_f64_f32_e32 v[35:36], v40
	v_cvt_f32_f64_e32 v8, v[15:16]
	v_cvt_f32_f64_e32 v9, v[21:22]
	v_cvt_f64_f32_e32 v[4:5], v0
	ds_read2_b64 v[0:3], v12 offset0:117 offset1:166
	v_add_co_u32_e32 v6, vcc, s10, v33
	v_addc_co_u32_e32 v7, vcc, v34, v38, vcc
	global_store_dwordx2 v[6:7], v[8:9], off
	v_mul_f64 v[8:9], v[35:36], s[4:5]
	v_mul_f64 v[4:5], v[4:5], s[4:5]
	s_waitcnt lgkmcnt(0)
	v_mul_f32_e32 v10, v1, v26
	v_fmac_f32_e32 v10, v0, v25
	v_mul_f32_e32 v0, v0, v26
	v_fma_f32 v0, v25, v1, -v0
	v_cvt_f64_f32_e32 v[10:11], v10
	v_cvt_f64_f32_e32 v[0:1], v0
	v_cvt_f32_f64_e32 v8, v[8:9]
	v_cvt_f32_f64_e32 v9, v[4:5]
	v_mul_f64 v[4:5], v[10:11], s[4:5]
	v_mul_f64 v[0:1], v[0:1], s[4:5]
	v_mov_b32_e32 v10, s7
	v_add_co_u32_e32 v6, vcc, s10, v6
	v_addc_co_u32_e32 v7, vcc, v7, v10, vcc
	global_store_dwordx2 v[6:7], v[8:9], off
	v_cvt_f32_f64_e32 v4, v[4:5]
	v_cvt_f32_f64_e32 v5, v[0:1]
	s_waitcnt vmcnt(6)
	v_mul_f32_e32 v0, v3, v30
	v_fmac_f32_e32 v0, v2, v29
	v_mul_f32_e32 v2, v2, v30
	v_fma_f32 v2, v29, v3, -v2
	v_cvt_f64_f32_e32 v[0:1], v0
	v_cvt_f64_f32_e32 v[2:3], v2
	v_mov_b32_e32 v8, s7
	v_add_co_u32_e32 v6, vcc, s10, v6
	v_mul_f64 v[0:1], v[0:1], s[4:5]
	v_mul_f64 v[2:3], v[2:3], s[4:5]
	v_addc_co_u32_e32 v7, vcc, v7, v8, vcc
	global_store_dwordx2 v[6:7], v[4:5], off
	s_waitcnt vmcnt(6)
	v_mul_f32_e32 v4, v28, v32
	v_mul_f32_e32 v8, v27, v32
	v_fmac_f32_e32 v4, v27, v31
	v_fma_f32 v8, v31, v28, -v8
	v_cvt_f64_f32_e32 v[4:5], v4
	v_cvt_f64_f32_e32 v[8:9], v8
	v_cvt_f32_f64_e32 v0, v[0:1]
	v_cvt_f32_f64_e32 v1, v[2:3]
	v_mul_f64 v[2:3], v[4:5], s[4:5]
	v_mul_f64 v[4:5], v[8:9], s[4:5]
	v_mov_b32_e32 v8, s7
	v_add_co_u32_e32 v6, vcc, s10, v6
	v_addc_co_u32_e32 v7, vcc, v7, v8, vcc
	global_store_dwordx2 v[6:7], v[0:1], off
	v_cvt_f32_f64_e32 v0, v[2:3]
	v_cvt_f32_f64_e32 v1, v[4:5]
	v_mov_b32_e32 v3, s7
	v_add_co_u32_e32 v2, vcc, s10, v6
	v_addc_co_u32_e32 v3, vcc, v7, v3, vcc
	global_store_dwordx2 v[2:3], v[0:1], off
.LBB0_15:
	s_endpgm
	.section	.rodata,"a",@progbits
	.p2align	6, 0x0
	.amdhsa_kernel bluestein_single_fwd_len392_dim1_sp_op_CI_CI
		.amdhsa_group_segment_fixed_size 3136
		.amdhsa_private_segment_fixed_size 0
		.amdhsa_kernarg_size 104
		.amdhsa_user_sgpr_count 6
		.amdhsa_user_sgpr_private_segment_buffer 1
		.amdhsa_user_sgpr_dispatch_ptr 0
		.amdhsa_user_sgpr_queue_ptr 0
		.amdhsa_user_sgpr_kernarg_segment_ptr 1
		.amdhsa_user_sgpr_dispatch_id 0
		.amdhsa_user_sgpr_flat_scratch_init 0
		.amdhsa_user_sgpr_private_segment_size 0
		.amdhsa_uses_dynamic_stack 0
		.amdhsa_system_sgpr_private_segment_wavefront_offset 0
		.amdhsa_system_sgpr_workgroup_id_x 1
		.amdhsa_system_sgpr_workgroup_id_y 0
		.amdhsa_system_sgpr_workgroup_id_z 0
		.amdhsa_system_sgpr_workgroup_info 0
		.amdhsa_system_vgpr_workitem_id 0
		.amdhsa_next_free_vgpr 60
		.amdhsa_next_free_sgpr 16
		.amdhsa_reserve_vcc 1
		.amdhsa_reserve_flat_scratch 0
		.amdhsa_float_round_mode_32 0
		.amdhsa_float_round_mode_16_64 0
		.amdhsa_float_denorm_mode_32 3
		.amdhsa_float_denorm_mode_16_64 3
		.amdhsa_dx10_clamp 1
		.amdhsa_ieee_mode 1
		.amdhsa_fp16_overflow 0
		.amdhsa_exception_fp_ieee_invalid_op 0
		.amdhsa_exception_fp_denorm_src 0
		.amdhsa_exception_fp_ieee_div_zero 0
		.amdhsa_exception_fp_ieee_overflow 0
		.amdhsa_exception_fp_ieee_underflow 0
		.amdhsa_exception_fp_ieee_inexact 0
		.amdhsa_exception_int_div_zero 0
	.end_amdhsa_kernel
	.text
.Lfunc_end0:
	.size	bluestein_single_fwd_len392_dim1_sp_op_CI_CI, .Lfunc_end0-bluestein_single_fwd_len392_dim1_sp_op_CI_CI
                                        ; -- End function
	.section	.AMDGPU.csdata,"",@progbits
; Kernel info:
; codeLenInByte = 5668
; NumSgprs: 20
; NumVgprs: 60
; ScratchSize: 0
; MemoryBound: 0
; FloatMode: 240
; IeeeMode: 1
; LDSByteSize: 3136 bytes/workgroup (compile time only)
; SGPRBlocks: 2
; VGPRBlocks: 14
; NumSGPRsForWavesPerEU: 20
; NumVGPRsForWavesPerEU: 60
; Occupancy: 4
; WaveLimiterHint : 1
; COMPUTE_PGM_RSRC2:SCRATCH_EN: 0
; COMPUTE_PGM_RSRC2:USER_SGPR: 6
; COMPUTE_PGM_RSRC2:TRAP_HANDLER: 0
; COMPUTE_PGM_RSRC2:TGID_X_EN: 1
; COMPUTE_PGM_RSRC2:TGID_Y_EN: 0
; COMPUTE_PGM_RSRC2:TGID_Z_EN: 0
; COMPUTE_PGM_RSRC2:TIDIG_COMP_CNT: 0
	.type	__hip_cuid_d646676cd5bd8d37,@object ; @__hip_cuid_d646676cd5bd8d37
	.section	.bss,"aw",@nobits
	.globl	__hip_cuid_d646676cd5bd8d37
__hip_cuid_d646676cd5bd8d37:
	.byte	0                               ; 0x0
	.size	__hip_cuid_d646676cd5bd8d37, 1

	.ident	"AMD clang version 19.0.0git (https://github.com/RadeonOpenCompute/llvm-project roc-6.4.0 25133 c7fe45cf4b819c5991fe208aaa96edf142730f1d)"
	.section	".note.GNU-stack","",@progbits
	.addrsig
	.addrsig_sym __hip_cuid_d646676cd5bd8d37
	.amdgpu_metadata
---
amdhsa.kernels:
  - .args:
      - .actual_access:  read_only
        .address_space:  global
        .offset:         0
        .size:           8
        .value_kind:     global_buffer
      - .actual_access:  read_only
        .address_space:  global
        .offset:         8
        .size:           8
        .value_kind:     global_buffer
      - .actual_access:  read_only
        .address_space:  global
        .offset:         16
        .size:           8
        .value_kind:     global_buffer
      - .actual_access:  read_only
        .address_space:  global
        .offset:         24
        .size:           8
        .value_kind:     global_buffer
      - .actual_access:  read_only
        .address_space:  global
        .offset:         32
        .size:           8
        .value_kind:     global_buffer
      - .offset:         40
        .size:           8
        .value_kind:     by_value
      - .address_space:  global
        .offset:         48
        .size:           8
        .value_kind:     global_buffer
      - .address_space:  global
        .offset:         56
        .size:           8
        .value_kind:     global_buffer
      - .address_space:  global
        .offset:         64
        .size:           8
        .value_kind:     global_buffer
      - .address_space:  global
        .offset:         72
        .size:           8
        .value_kind:     global_buffer
      - .offset:         80
        .size:           4
        .value_kind:     by_value
      - .address_space:  global
        .offset:         88
        .size:           8
        .value_kind:     global_buffer
      - .address_space:  global
        .offset:         96
        .size:           8
        .value_kind:     global_buffer
    .group_segment_fixed_size: 3136
    .kernarg_segment_align: 8
    .kernarg_segment_size: 104
    .language:       OpenCL C
    .language_version:
      - 2
      - 0
    .max_flat_workgroup_size: 56
    .name:           bluestein_single_fwd_len392_dim1_sp_op_CI_CI
    .private_segment_fixed_size: 0
    .sgpr_count:     20
    .sgpr_spill_count: 0
    .symbol:         bluestein_single_fwd_len392_dim1_sp_op_CI_CI.kd
    .uniform_work_group_size: 1
    .uses_dynamic_stack: false
    .vgpr_count:     60
    .vgpr_spill_count: 0
    .wavefront_size: 64
amdhsa.target:   amdgcn-amd-amdhsa--gfx906
amdhsa.version:
  - 1
  - 2
...

	.end_amdgpu_metadata
